;; amdgpu-corpus repo=ROCm/rocFFT kind=compiled arch=gfx906 opt=O3
	.text
	.amdgcn_target "amdgcn-amd-amdhsa--gfx906"
	.amdhsa_code_object_version 6
	.protected	fft_rtc_back_len1440_factors_10_16_3_3_wgs_90_tpt_90_halfLds_sp_ip_CI_unitstride_sbrr_C2R_dirReg ; -- Begin function fft_rtc_back_len1440_factors_10_16_3_3_wgs_90_tpt_90_halfLds_sp_ip_CI_unitstride_sbrr_C2R_dirReg
	.globl	fft_rtc_back_len1440_factors_10_16_3_3_wgs_90_tpt_90_halfLds_sp_ip_CI_unitstride_sbrr_C2R_dirReg
	.p2align	8
	.type	fft_rtc_back_len1440_factors_10_16_3_3_wgs_90_tpt_90_halfLds_sp_ip_CI_unitstride_sbrr_C2R_dirReg,@function
fft_rtc_back_len1440_factors_10_16_3_3_wgs_90_tpt_90_halfLds_sp_ip_CI_unitstride_sbrr_C2R_dirReg: ; @fft_rtc_back_len1440_factors_10_16_3_3_wgs_90_tpt_90_halfLds_sp_ip_CI_unitstride_sbrr_C2R_dirReg
; %bb.0:
	s_load_dwordx2 s[12:13], s[4:5], 0x50
	s_load_dwordx4 s[8:11], s[4:5], 0x0
	s_load_dwordx2 s[2:3], s[4:5], 0x18
	v_mul_u32_u24_e32 v1, 0x2d9, v0
	v_add_u32_sdwa v5, s6, v1 dst_sel:DWORD dst_unused:UNUSED_PAD src0_sel:DWORD src1_sel:WORD_1
	v_mov_b32_e32 v3, 0
	s_waitcnt lgkmcnt(0)
	v_cmp_lt_u64_e64 s[0:1], s[10:11], 2
	v_mov_b32_e32 v1, 0
	v_mov_b32_e32 v6, v3
	s_and_b64 vcc, exec, s[0:1]
	v_mov_b32_e32 v2, 0
	s_cbranch_vccnz .LBB0_8
; %bb.1:
	s_load_dwordx2 s[0:1], s[4:5], 0x10
	s_add_u32 s6, s2, 8
	s_addc_u32 s7, s3, 0
	v_mov_b32_e32 v1, 0
	v_mov_b32_e32 v2, 0
	s_waitcnt lgkmcnt(0)
	s_add_u32 s14, s0, 8
	s_addc_u32 s15, s1, 0
	s_mov_b64 s[16:17], 1
.LBB0_2:                                ; =>This Inner Loop Header: Depth=1
	s_load_dwordx2 s[18:19], s[14:15], 0x0
                                        ; implicit-def: $vgpr7_vgpr8
	s_waitcnt lgkmcnt(0)
	v_or_b32_e32 v4, s19, v6
	v_cmp_ne_u64_e32 vcc, 0, v[3:4]
	s_and_saveexec_b64 s[0:1], vcc
	s_xor_b64 s[20:21], exec, s[0:1]
	s_cbranch_execz .LBB0_4
; %bb.3:                                ;   in Loop: Header=BB0_2 Depth=1
	v_cvt_f32_u32_e32 v4, s18
	v_cvt_f32_u32_e32 v7, s19
	s_sub_u32 s0, 0, s18
	s_subb_u32 s1, 0, s19
	v_mac_f32_e32 v4, 0x4f800000, v7
	v_rcp_f32_e32 v4, v4
	v_mul_f32_e32 v4, 0x5f7ffffc, v4
	v_mul_f32_e32 v7, 0x2f800000, v4
	v_trunc_f32_e32 v7, v7
	v_mac_f32_e32 v4, 0xcf800000, v7
	v_cvt_u32_f32_e32 v7, v7
	v_cvt_u32_f32_e32 v4, v4
	v_mul_lo_u32 v8, s0, v7
	v_mul_hi_u32 v9, s0, v4
	v_mul_lo_u32 v11, s1, v4
	v_mul_lo_u32 v10, s0, v4
	v_add_u32_e32 v8, v9, v8
	v_add_u32_e32 v8, v8, v11
	v_mul_hi_u32 v9, v4, v10
	v_mul_lo_u32 v11, v4, v8
	v_mul_hi_u32 v13, v4, v8
	v_mul_hi_u32 v12, v7, v10
	v_mul_lo_u32 v10, v7, v10
	v_mul_hi_u32 v14, v7, v8
	v_add_co_u32_e32 v9, vcc, v9, v11
	v_addc_co_u32_e32 v11, vcc, 0, v13, vcc
	v_mul_lo_u32 v8, v7, v8
	v_add_co_u32_e32 v9, vcc, v9, v10
	v_addc_co_u32_e32 v9, vcc, v11, v12, vcc
	v_addc_co_u32_e32 v10, vcc, 0, v14, vcc
	v_add_co_u32_e32 v8, vcc, v9, v8
	v_addc_co_u32_e32 v9, vcc, 0, v10, vcc
	v_add_co_u32_e32 v4, vcc, v4, v8
	v_addc_co_u32_e32 v7, vcc, v7, v9, vcc
	v_mul_lo_u32 v8, s0, v7
	v_mul_hi_u32 v9, s0, v4
	v_mul_lo_u32 v10, s1, v4
	v_mul_lo_u32 v11, s0, v4
	v_add_u32_e32 v8, v9, v8
	v_add_u32_e32 v8, v8, v10
	v_mul_lo_u32 v12, v4, v8
	v_mul_hi_u32 v13, v4, v11
	v_mul_hi_u32 v14, v4, v8
	;; [unrolled: 1-line block ×3, first 2 shown]
	v_mul_lo_u32 v11, v7, v11
	v_mul_hi_u32 v9, v7, v8
	v_add_co_u32_e32 v12, vcc, v13, v12
	v_addc_co_u32_e32 v13, vcc, 0, v14, vcc
	v_mul_lo_u32 v8, v7, v8
	v_add_co_u32_e32 v11, vcc, v12, v11
	v_addc_co_u32_e32 v10, vcc, v13, v10, vcc
	v_addc_co_u32_e32 v9, vcc, 0, v9, vcc
	v_add_co_u32_e32 v8, vcc, v10, v8
	v_addc_co_u32_e32 v9, vcc, 0, v9, vcc
	v_add_co_u32_e32 v4, vcc, v4, v8
	v_addc_co_u32_e32 v9, vcc, v7, v9, vcc
	v_mad_u64_u32 v[7:8], s[0:1], v5, v9, 0
	v_mul_hi_u32 v10, v5, v4
	v_add_co_u32_e32 v11, vcc, v10, v7
	v_addc_co_u32_e32 v12, vcc, 0, v8, vcc
	v_mad_u64_u32 v[7:8], s[0:1], v6, v4, 0
	v_mad_u64_u32 v[9:10], s[0:1], v6, v9, 0
	v_add_co_u32_e32 v4, vcc, v11, v7
	v_addc_co_u32_e32 v4, vcc, v12, v8, vcc
	v_addc_co_u32_e32 v7, vcc, 0, v10, vcc
	v_add_co_u32_e32 v4, vcc, v4, v9
	v_addc_co_u32_e32 v9, vcc, 0, v7, vcc
	v_mul_lo_u32 v10, s19, v4
	v_mul_lo_u32 v11, s18, v9
	v_mad_u64_u32 v[7:8], s[0:1], s18, v4, 0
	v_add3_u32 v8, v8, v11, v10
	v_sub_u32_e32 v10, v6, v8
	v_mov_b32_e32 v11, s19
	v_sub_co_u32_e32 v7, vcc, v5, v7
	v_subb_co_u32_e64 v10, s[0:1], v10, v11, vcc
	v_subrev_co_u32_e64 v11, s[0:1], s18, v7
	v_subbrev_co_u32_e64 v10, s[0:1], 0, v10, s[0:1]
	v_cmp_le_u32_e64 s[0:1], s19, v10
	v_cndmask_b32_e64 v12, 0, -1, s[0:1]
	v_cmp_le_u32_e64 s[0:1], s18, v11
	v_cndmask_b32_e64 v11, 0, -1, s[0:1]
	v_cmp_eq_u32_e64 s[0:1], s19, v10
	v_cndmask_b32_e64 v10, v12, v11, s[0:1]
	v_add_co_u32_e64 v11, s[0:1], 2, v4
	v_addc_co_u32_e64 v12, s[0:1], 0, v9, s[0:1]
	v_add_co_u32_e64 v13, s[0:1], 1, v4
	v_addc_co_u32_e64 v14, s[0:1], 0, v9, s[0:1]
	v_subb_co_u32_e32 v8, vcc, v6, v8, vcc
	v_cmp_ne_u32_e64 s[0:1], 0, v10
	v_cmp_le_u32_e32 vcc, s19, v8
	v_cndmask_b32_e64 v10, v14, v12, s[0:1]
	v_cndmask_b32_e64 v12, 0, -1, vcc
	v_cmp_le_u32_e32 vcc, s18, v7
	v_cndmask_b32_e64 v7, 0, -1, vcc
	v_cmp_eq_u32_e32 vcc, s19, v8
	v_cndmask_b32_e32 v7, v12, v7, vcc
	v_cmp_ne_u32_e32 vcc, 0, v7
	v_cndmask_b32_e64 v7, v13, v11, s[0:1]
	v_cndmask_b32_e32 v8, v9, v10, vcc
	v_cndmask_b32_e32 v7, v4, v7, vcc
.LBB0_4:                                ;   in Loop: Header=BB0_2 Depth=1
	s_andn2_saveexec_b64 s[0:1], s[20:21]
	s_cbranch_execz .LBB0_6
; %bb.5:                                ;   in Loop: Header=BB0_2 Depth=1
	v_cvt_f32_u32_e32 v4, s18
	s_sub_i32 s20, 0, s18
	v_rcp_iflag_f32_e32 v4, v4
	v_mul_f32_e32 v4, 0x4f7ffffe, v4
	v_cvt_u32_f32_e32 v4, v4
	v_mul_lo_u32 v7, s20, v4
	v_mul_hi_u32 v7, v4, v7
	v_add_u32_e32 v4, v4, v7
	v_mul_hi_u32 v4, v5, v4
	v_mul_lo_u32 v7, v4, s18
	v_add_u32_e32 v8, 1, v4
	v_sub_u32_e32 v7, v5, v7
	v_subrev_u32_e32 v9, s18, v7
	v_cmp_le_u32_e32 vcc, s18, v7
	v_cndmask_b32_e32 v7, v7, v9, vcc
	v_cndmask_b32_e32 v4, v4, v8, vcc
	v_add_u32_e32 v8, 1, v4
	v_cmp_le_u32_e32 vcc, s18, v7
	v_cndmask_b32_e32 v7, v4, v8, vcc
	v_mov_b32_e32 v8, v3
.LBB0_6:                                ;   in Loop: Header=BB0_2 Depth=1
	s_or_b64 exec, exec, s[0:1]
	v_mul_lo_u32 v4, v8, s18
	v_mul_lo_u32 v11, v7, s19
	v_mad_u64_u32 v[9:10], s[0:1], v7, s18, 0
	s_load_dwordx2 s[0:1], s[6:7], 0x0
	s_add_u32 s16, s16, 1
	v_add3_u32 v4, v10, v11, v4
	v_sub_co_u32_e32 v5, vcc, v5, v9
	v_subb_co_u32_e32 v4, vcc, v6, v4, vcc
	s_waitcnt lgkmcnt(0)
	v_mul_lo_u32 v4, s0, v4
	v_mul_lo_u32 v6, s1, v5
	v_mad_u64_u32 v[1:2], s[0:1], s0, v5, v[1:2]
	s_addc_u32 s17, s17, 0
	s_add_u32 s6, s6, 8
	v_add3_u32 v2, v6, v2, v4
	v_mov_b32_e32 v4, s10
	v_mov_b32_e32 v5, s11
	s_addc_u32 s7, s7, 0
	v_cmp_ge_u64_e32 vcc, s[16:17], v[4:5]
	s_add_u32 s14, s14, 8
	s_addc_u32 s15, s15, 0
	s_cbranch_vccnz .LBB0_9
; %bb.7:                                ;   in Loop: Header=BB0_2 Depth=1
	v_mov_b32_e32 v5, v7
	v_mov_b32_e32 v6, v8
	s_branch .LBB0_2
.LBB0_8:
	v_mov_b32_e32 v8, v6
	v_mov_b32_e32 v7, v5
.LBB0_9:
	s_lshl_b64 s[0:1], s[10:11], 3
	s_add_u32 s0, s2, s0
	s_addc_u32 s1, s3, s1
	s_load_dwordx2 s[2:3], s[0:1], 0x0
	s_load_dwordx2 s[6:7], s[4:5], 0x20
	s_waitcnt lgkmcnt(0)
	v_mad_u64_u32 v[1:2], s[0:1], s2, v7, v[1:2]
	v_mul_lo_u32 v3, s2, v8
	v_mul_lo_u32 v4, s3, v7
	s_mov_b32 s0, 0x2d82d83
	v_mul_hi_u32 v5, v0, s0
	v_cmp_gt_u64_e64 s[0:1], s[6:7], v[7:8]
	v_add3_u32 v2, v4, v2, v3
	v_lshlrev_b64 v[42:43], 3, v[1:2]
	v_mul_u32_u24_e32 v3, 0x5a, v5
	v_sub_u32_e32 v40, v0, v3
	s_and_saveexec_b64 s[2:3], s[0:1]
	s_cbranch_execz .LBB0_13
; %bb.10:
	v_mov_b32_e32 v41, 0
	v_mov_b32_e32 v0, s13
	v_add_co_u32_e32 v1, vcc, s12, v42
	v_lshlrev_b64 v[2:3], 3, v[40:41]
	v_addc_co_u32_e32 v0, vcc, v0, v43, vcc
	v_add_co_u32_e32 v2, vcc, v1, v2
	v_addc_co_u32_e32 v3, vcc, v0, v3, vcc
	s_movk_i32 s4, 0x1000
	v_add_co_u32_e32 v6, vcc, s4, v2
	v_addc_co_u32_e32 v7, vcc, 0, v3, vcc
	global_load_dwordx2 v[4:5], v[2:3], off offset:2160
	global_load_dwordx2 v[8:9], v[2:3], off offset:2880
	;; [unrolled: 1-line block ×5, first 2 shown]
	global_load_dwordx2 v[16:17], v[2:3], off
	global_load_dwordx2 v[18:19], v[2:3], off offset:1440
	global_load_dwordx2 v[20:21], v[2:3], off offset:720
	v_add_co_u32_e32 v2, vcc, 0x2000, v2
	v_addc_co_u32_e32 v3, vcc, 0, v3, vcc
	global_load_dwordx2 v[22:23], v[6:7], off offset:1664
	global_load_dwordx2 v[24:25], v[6:7], off offset:2384
	;; [unrolled: 1-line block ×4, first 2 shown]
	s_nop 0
	global_load_dwordx2 v[6:7], v[2:3], off offset:448
	global_load_dwordx2 v[30:31], v[2:3], off offset:1168
	;; [unrolled: 1-line block ×4, first 2 shown]
	v_lshl_add_u32 v2, v40, 3, 0
	s_movk_i32 s4, 0x59
	v_add_u32_e32 v3, 0x400, v2
	v_cmp_eq_u32_e32 vcc, s4, v40
	v_add_u32_e32 v36, 0x800, v2
	v_add_u32_e32 v37, 0x1000, v2
	;; [unrolled: 1-line block ×6, first 2 shown]
	s_waitcnt vmcnt(9)
	ds_write2_b64 v3, v[18:19], v[4:5] offset0:52 offset1:142
	ds_write2_b64 v36, v[8:9], v[10:11] offset0:104 offset1:194
	s_waitcnt vmcnt(8)
	ds_write2_b64 v2, v[16:17], v[20:21] offset1:90
	ds_write2_b64 v37, v[12:13], v[14:15] offset0:28 offset1:118
	s_waitcnt vmcnt(6)
	ds_write2_b64 v38, v[22:23], v[24:25] offset0:80 offset1:170
	s_waitcnt vmcnt(4)
	;; [unrolled: 2-line block ×4, first 2 shown]
	ds_write2_b64 v45, v[32:33], v[34:35] offset0:108 offset1:198
	s_and_saveexec_b64 s[4:5], vcc
	s_cbranch_execz .LBB0_12
; %bb.11:
	v_add_co_u32_e32 v1, vcc, 0x2000, v1
	v_addc_co_u32_e32 v2, vcc, 0, v0, vcc
	global_load_dwordx2 v[0:1], v[1:2], off offset:3328
	v_mov_b32_e32 v40, 0x59
	s_waitcnt vmcnt(0)
	ds_write_b64 v41, v[0:1] offset:11520
.LBB0_12:
	s_or_b64 exec, exec, s[4:5]
.LBB0_13:
	s_or_b64 exec, exec, s[2:3]
	v_lshlrev_b32_e32 v0, 3, v40
	v_add_u32_e32 v44, 0, v0
	s_waitcnt lgkmcnt(0)
	s_barrier
	v_sub_u32_e32 v4, 0, v0
	ds_read_b32 v5, v44
	ds_read_b32 v6, v4 offset:11520
	s_add_u32 s4, s8, 0x2cb0
	s_addc_u32 s5, s9, 0
	v_cmp_ne_u32_e32 vcc, 0, v40
                                        ; implicit-def: $vgpr2_vgpr3
	s_waitcnt lgkmcnt(0)
	v_add_f32_e32 v0, v6, v5
	v_sub_f32_e32 v1, v5, v6
	s_and_saveexec_b64 s[2:3], vcc
	s_xor_b64 s[2:3], exec, s[2:3]
	s_cbranch_execz .LBB0_15
; %bb.14:
	v_mov_b32_e32 v41, 0
	v_lshlrev_b64 v[0:1], 3, v[40:41]
	v_mov_b32_e32 v2, s5
	v_add_co_u32_e32 v0, vcc, s4, v0
	v_addc_co_u32_e32 v1, vcc, v2, v1, vcc
	global_load_dwordx2 v[2:3], v[0:1], off
	ds_read_b32 v0, v4 offset:11524
	ds_read_b32 v1, v44 offset:4
	v_add_f32_e32 v7, v6, v5
	v_sub_f32_e32 v8, v5, v6
	s_waitcnt lgkmcnt(0)
	v_add_f32_e32 v9, v0, v1
	v_sub_f32_e32 v0, v1, v0
	s_waitcnt vmcnt(0)
	v_fma_f32 v10, v8, v3, v7
	v_fma_f32 v1, v9, v3, v0
	v_fma_f32 v5, -v8, v3, v7
	v_fma_f32 v6, v9, v3, -v0
	v_fma_f32 v0, -v2, v9, v10
	v_fmac_f32_e32 v1, v8, v2
	v_fmac_f32_e32 v5, v2, v9
	;; [unrolled: 1-line block ×3, first 2 shown]
	v_mov_b32_e32 v2, v40
	ds_write_b64 v4, v[5:6] offset:11520
	v_mov_b32_e32 v3, v41
.LBB0_15:
	s_andn2_saveexec_b64 s[2:3], s[2:3]
	s_cbranch_execz .LBB0_17
; %bb.16:
	v_mov_b32_e32 v7, 0
	ds_read_b64 v[2:3], v7 offset:5760
	s_waitcnt lgkmcnt(0)
	v_add_f32_e32 v5, v2, v2
	v_mul_f32_e32 v6, -2.0, v3
	v_mov_b32_e32 v2, 0
	v_mov_b32_e32 v3, 0
	ds_write_b64 v7, v[5:6] offset:5760
.LBB0_17:
	s_or_b64 exec, exec, s[2:3]
	v_lshlrev_b64 v[2:3], 3, v[2:3]
	v_mov_b32_e32 v5, s5
	v_add_co_u32_e32 v2, vcc, s4, v2
	v_addc_co_u32_e32 v3, vcc, v5, v3, vcc
	global_load_dwordx2 v[5:6], v[2:3], off offset:720
	global_load_dwordx2 v[7:8], v[2:3], off offset:1440
	;; [unrolled: 1-line block ×4, first 2 shown]
	ds_write_b64 v44, v[0:1]
	ds_read_b64 v[0:1], v44 offset:720
	ds_read_b64 v[13:14], v4 offset:10800
	global_load_dwordx2 v[15:16], v[2:3], off offset:3600
	s_movk_i32 s2, 0x1000
	v_add_co_u32_e32 v2, vcc, s2, v2
	s_waitcnt lgkmcnt(0)
	v_add_f32_e32 v17, v0, v13
	v_add_f32_e32 v18, v14, v1
	v_sub_f32_e32 v19, v0, v13
	v_sub_f32_e32 v0, v1, v14
	v_addc_co_u32_e32 v3, vcc, 0, v3, vcc
	v_add_u32_e32 v41, 0x800, v44
	v_add_u32_e32 v49, 0x1800, v44
	;; [unrolled: 1-line block ×7, first 2 shown]
	s_movk_i32 s2, 0x48
	v_mad_u32_u24 v78, v40, s2, v44
	s_mov_b32 s4, 0xbe9e377a
	s_mov_b32 s5, 0xbf4f1bbd
	v_cmp_gt_u32_e32 vcc, 54, v40
	s_waitcnt vmcnt(4)
	v_fma_f32 v20, v19, v6, v17
	v_fma_f32 v1, v18, v6, v0
	v_fma_f32 v13, -v19, v6, v17
	v_fma_f32 v14, v18, v6, -v0
	v_fma_f32 v0, -v5, v18, v20
	v_fmac_f32_e32 v1, v19, v5
	v_fmac_f32_e32 v13, v5, v18
	;; [unrolled: 1-line block ×3, first 2 shown]
	ds_write_b64 v44, v[0:1] offset:720
	ds_write_b64 v4, v[13:14] offset:10800
	ds_read_b64 v[0:1], v44 offset:1440
	ds_read_b64 v[5:6], v4 offset:10080
	global_load_dwordx2 v[13:14], v[2:3], off offset:224
	s_waitcnt lgkmcnt(0)
	v_add_f32_e32 v17, v0, v5
	v_add_f32_e32 v18, v6, v1
	v_sub_f32_e32 v19, v0, v5
	v_sub_f32_e32 v0, v1, v6
	s_waitcnt vmcnt(4)
	v_fma_f32 v20, v19, v8, v17
	v_fma_f32 v1, v18, v8, v0
	v_fma_f32 v5, -v19, v8, v17
	v_fma_f32 v6, v18, v8, -v0
	v_fma_f32 v0, -v7, v18, v20
	v_fmac_f32_e32 v1, v19, v7
	v_fmac_f32_e32 v5, v7, v18
	v_fmac_f32_e32 v6, v19, v7
	ds_write_b64 v44, v[0:1] offset:1440
	ds_write_b64 v4, v[5:6] offset:10080
	ds_read_b64 v[0:1], v44 offset:2160
	ds_read_b64 v[5:6], v4 offset:9360
	global_load_dwordx2 v[2:3], v[2:3], off offset:944
	s_waitcnt lgkmcnt(0)
	v_add_f32_e32 v7, v0, v5
	v_add_f32_e32 v8, v6, v1
	v_sub_f32_e32 v17, v0, v5
	v_sub_f32_e32 v0, v1, v6
	s_waitcnt vmcnt(4)
	v_fma_f32 v18, v17, v10, v7
	v_fma_f32 v1, v8, v10, v0
	v_fma_f32 v5, -v17, v10, v7
	v_fma_f32 v6, v8, v10, -v0
	v_fma_f32 v0, -v9, v8, v18
	v_fmac_f32_e32 v1, v17, v9
	v_fmac_f32_e32 v5, v9, v8
	v_fmac_f32_e32 v6, v17, v9
	ds_write_b64 v44, v[0:1] offset:2160
	ds_write_b64 v4, v[5:6] offset:9360
	ds_read_b64 v[0:1], v44 offset:2880
	ds_read_b64 v[5:6], v4 offset:8640
	s_waitcnt lgkmcnt(0)
	v_add_f32_e32 v7, v0, v5
	v_add_f32_e32 v8, v6, v1
	v_sub_f32_e32 v9, v0, v5
	v_sub_f32_e32 v0, v1, v6
	s_waitcnt vmcnt(3)
	v_fma_f32 v10, v9, v12, v7
	v_fma_f32 v1, v8, v12, v0
	v_fma_f32 v5, -v9, v12, v7
	v_fma_f32 v6, v8, v12, -v0
	v_fma_f32 v0, -v11, v8, v10
	v_fmac_f32_e32 v1, v9, v11
	v_fmac_f32_e32 v5, v11, v8
	v_fmac_f32_e32 v6, v9, v11
	ds_write_b64 v44, v[0:1] offset:2880
	ds_write_b64 v4, v[5:6] offset:8640
	ds_read_b64 v[0:1], v44 offset:3600
	ds_read_b64 v[5:6], v4 offset:7920
	;; [unrolled: 18-line block ×3, first 2 shown]
	v_add_u32_e32 v16, 0xc00, v44
	s_waitcnt lgkmcnt(0)
	v_add_f32_e32 v7, v0, v5
	v_add_f32_e32 v8, v6, v1
	v_sub_f32_e32 v9, v0, v5
	v_sub_f32_e32 v0, v1, v6
	s_waitcnt vmcnt(1)
	v_fma_f32 v10, v9, v14, v7
	v_fma_f32 v1, v8, v14, v0
	v_fma_f32 v5, -v9, v14, v7
	v_fma_f32 v6, v8, v14, -v0
	v_fma_f32 v0, -v13, v8, v10
	v_fmac_f32_e32 v1, v9, v13
	v_fmac_f32_e32 v5, v13, v8
	;; [unrolled: 1-line block ×3, first 2 shown]
	ds_write_b64 v44, v[0:1] offset:4320
	ds_write_b64 v4, v[5:6] offset:7200
	ds_read_b64 v[0:1], v44 offset:5040
	ds_read_b64 v[5:6], v4 offset:6480
	s_waitcnt lgkmcnt(0)
	v_add_f32_e32 v7, v0, v5
	v_add_f32_e32 v8, v6, v1
	v_sub_f32_e32 v9, v0, v5
	v_sub_f32_e32 v0, v1, v6
	s_waitcnt vmcnt(0)
	v_fma_f32 v10, v9, v3, v7
	v_fma_f32 v1, v8, v3, v0
	v_fma_f32 v5, -v9, v3, v7
	v_fma_f32 v6, v8, v3, -v0
	v_fma_f32 v0, -v2, v8, v10
	v_fmac_f32_e32 v1, v9, v2
	v_fmac_f32_e32 v5, v2, v8
	v_fmac_f32_e32 v6, v9, v2
	ds_write_b64 v44, v[0:1] offset:5040
	ds_write_b64 v4, v[5:6] offset:6480
	s_waitcnt lgkmcnt(0)
	s_barrier
	s_barrier
	ds_read2_b64 v[0:3], v41 offset0:32 offset1:122
	ds_read2_b64 v[4:7], v45 offset0:64 offset1:154
	;; [unrolled: 1-line block ×4, first 2 shown]
	s_waitcnt lgkmcnt(2)
	v_sub_f32_e32 v17, v0, v4
	v_sub_f32_e32 v32, v1, v5
	s_waitcnt lgkmcnt(0)
	v_sub_f32_e32 v18, v12, v8
	v_add_f32_e32 v54, v17, v18
	ds_read2_b64 v[16:19], v16 offset0:48 offset1:138
	ds_read2_b64 v[20:23], v46 offset0:80 offset1:170
	;; [unrolled: 1-line block ×4, first 2 shown]
	v_sub_f32_e32 v33, v13, v9
	v_add_f32_e32 v55, v32, v33
	s_waitcnt lgkmcnt(2)
	v_sub_f32_e32 v32, v16, v20
	v_sub_f32_e32 v36, v17, v21
	s_waitcnt lgkmcnt(0)
	v_sub_f32_e32 v33, v24, v28
	v_add_f32_e32 v56, v32, v33
	ds_read2_b64 v[32:35], v44 offset0:144 offset1:234
	v_sub_f32_e32 v37, v25, v29
	v_add_f32_e32 v57, v36, v37
	v_add_f32_e32 v36, v20, v28
	v_sub_f32_e32 v62, v16, v24
	s_waitcnt lgkmcnt(0)
	v_fma_f32 v58, -0.5, v36, v32
	v_add_f32_e32 v36, v21, v29
	v_fma_f32 v61, -0.5, v36, v33
	v_mov_b32_e32 v51, v61
	ds_read2_b64 v[36:39], v44 offset1:90
	v_sub_f32_e32 v59, v17, v25
	v_mov_b32_e32 v50, v58
	v_fmac_f32_e32 v51, 0x3f737871, v62
	v_sub_f32_e32 v63, v20, v28
	v_fmac_f32_e32 v50, 0xbf737871, v59
	v_sub_f32_e32 v60, v21, v29
	v_fmac_f32_e32 v51, 0x3f167918, v63
	v_fmac_f32_e32 v50, 0xbf167918, v60
	v_fmac_f32_e32 v51, 0x3e9e377a, v57
	v_fmac_f32_e32 v50, 0x3e9e377a, v56
	v_mul_f32_e32 v64, 0xbf167918, v51
	v_fmac_f32_e32 v64, 0x3f4f1bbd, v50
	v_mul_f32_e32 v65, 0x3f167918, v50
	s_waitcnt lgkmcnt(0)
	v_add_f32_e32 v50, v36, v0
	v_add_f32_e32 v50, v50, v4
	;; [unrolled: 1-line block ×5, first 2 shown]
	v_sub_f32_e32 v73, v0, v12
	v_sub_f32_e32 v75, v4, v8
	;; [unrolled: 1-line block ×4, first 2 shown]
	v_add_f32_e32 v0, v0, v12
	v_add_f32_e32 v4, v4, v8
	v_fma_f32 v8, -0.5, v0, v36
	v_fma_f32 v67, -0.5, v50, v36
	v_sub_f32_e32 v70, v5, v9
	v_add_f32_e32 v50, v37, v1
	v_mov_b32_e32 v12, v8
	v_sub_f32_e32 v68, v1, v13
	v_add_f32_e32 v50, v50, v5
	v_fmac_f32_e32 v12, 0x3f737871, v70
	v_fmac_f32_e32 v8, 0xbf737871, v70
	v_add_f32_e32 v50, v50, v9
	v_fmac_f32_e32 v12, 0xbf167918, v68
	v_fmac_f32_e32 v8, 0x3f167918, v68
	v_sub_f32_e32 v0, v5, v1
	v_add_f32_e32 v1, v1, v13
	v_add_f32_e32 v71, v50, v13
	;; [unrolled: 1-line block ×3, first 2 shown]
	v_fmac_f32_e32 v12, 0x3e9e377a, v4
	v_fmac_f32_e32 v8, 0x3e9e377a, v4
	v_sub_f32_e32 v4, v9, v13
	v_fma_f32 v9, -0.5, v1, v37
	v_mov_b32_e32 v13, v9
	v_fmac_f32_e32 v13, 0xbf737871, v75
	v_fmac_f32_e32 v9, 0x3f737871, v75
	v_add_f32_e32 v0, v0, v4
	v_fmac_f32_e32 v13, 0x3f167918, v73
	v_fmac_f32_e32 v9, 0xbf167918, v73
	v_fmac_f32_e32 v13, 0x3e9e377a, v0
	v_fmac_f32_e32 v9, 0x3e9e377a, v0
	v_sub_f32_e32 v0, v20, v16
	v_sub_f32_e32 v1, v28, v24
	v_add_f32_e32 v0, v0, v1
	v_add_f32_e32 v1, v16, v24
	v_fma_f32 v1, -0.5, v1, v32
	v_mov_b32_e32 v4, v1
	v_fmac_f32_e32 v4, 0x3f737871, v60
	v_fmac_f32_e32 v1, 0xbf737871, v60
	;; [unrolled: 1-line block ×6, first 2 shown]
	v_sub_f32_e32 v0, v21, v17
	v_sub_f32_e32 v5, v29, v25
	v_add_f32_e32 v0, v0, v5
	v_add_f32_e32 v5, v17, v25
	v_fma_f32 v72, -0.5, v50, v37
	v_add_f32_e32 v50, v32, v16
	v_fma_f32 v5, -0.5, v5, v33
	v_add_f32_e32 v50, v50, v20
	v_mov_b32_e32 v16, v5
	v_add_f32_e32 v50, v50, v28
	v_fmac_f32_e32 v16, 0xbf737871, v63
	v_fmac_f32_e32 v5, 0x3f737871, v63
	v_add_f32_e32 v76, v50, v24
	v_add_f32_e32 v50, v33, v17
	v_fmac_f32_e32 v16, 0x3f167918, v62
	v_fmac_f32_e32 v5, 0xbf167918, v62
	;; [unrolled: 1-line block ×3, first 2 shown]
	v_add_f32_e32 v50, v50, v21
	v_fmac_f32_e32 v16, 0x3e9e377a, v0
	v_fmac_f32_e32 v5, 0x3e9e377a, v0
	;; [unrolled: 1-line block ×4, first 2 shown]
	v_mov_b32_e32 v69, v67
	v_mov_b32_e32 v74, v72
	v_add_f32_e32 v50, v50, v29
	v_mul_f32_e32 v17, 0xbf737871, v16
	v_mul_f32_e32 v16, 0x3e9e377a, v16
	;; [unrolled: 1-line block ×4, first 2 shown]
	v_fmac_f32_e32 v67, 0x3f737871, v68
	v_fmac_f32_e32 v72, 0xbf737871, v73
	;; [unrolled: 1-line block ×6, first 2 shown]
	v_add_f32_e32 v77, v50, v25
	v_fmac_f32_e32 v17, 0x3e9e377a, v4
	v_fmac_f32_e32 v16, 0x3f737871, v4
	;; [unrolled: 1-line block ×7, first 2 shown]
	v_mul_f32_e32 v24, 0xbf167918, v61
	v_mul_f32_e32 v25, 0xbf4f1bbd, v61
	v_fmac_f32_e32 v69, 0xbf167918, v70
	v_fmac_f32_e32 v74, 0x3f167918, v75
	v_add_f32_e32 v0, v12, v17
	v_add_f32_e32 v1, v13, v16
	;; [unrolled: 1-line block ×4, first 2 shown]
	v_fmac_f32_e32 v67, 0x3e9e377a, v54
	v_fmac_f32_e32 v72, 0x3e9e377a, v55
	;; [unrolled: 1-line block ×7, first 2 shown]
	s_barrier
	ds_write2_b64 v78, v[0:1], v[4:5] offset0:2 offset1:3
	v_sub_f32_e32 v0, v66, v76
	v_sub_f32_e32 v1, v71, v77
	v_add_f32_e32 v4, v67, v24
	v_add_f32_e32 v5, v72, v25
	ds_write2_b64 v78, v[4:5], v[0:1] offset0:4 offset1:5
	v_sub_f32_e32 v0, v69, v64
	v_sub_f32_e32 v1, v74, v65
	;; [unrolled: 1-line block ×4, first 2 shown]
	ds_write2_b64 v78, v[0:1], v[4:5] offset0:6 offset1:7
	v_sub_f32_e32 v0, v8, v20
	v_sub_f32_e32 v1, v9, v21
	;; [unrolled: 1-line block ×4, first 2 shown]
	ds_write2_b64 v78, v[0:1], v[4:5] offset0:8 offset1:9
	v_sub_f32_e32 v0, v2, v6
	v_sub_f32_e32 v1, v14, v10
	v_add_f32_e32 v12, v0, v1
	v_sub_f32_e32 v0, v6, v2
	v_sub_f32_e32 v1, v10, v14
	v_add_f32_e32 v50, v66, v76
	v_add_f32_e32 v51, v71, v77
	v_add_f32_e32 v52, v69, v64
	v_add_f32_e32 v53, v74, v65
	v_add_f32_e32 v13, v0, v1
	v_sub_f32_e32 v0, v3, v7
	v_sub_f32_e32 v1, v15, v11
	ds_write2_b64 v78, v[50:51], v[52:53] offset1:1
	v_add_f32_e32 v51, v0, v1
	v_sub_f32_e32 v0, v7, v3
	v_sub_f32_e32 v1, v11, v15
	v_add_f32_e32 v16, v0, v1
	v_sub_f32_e32 v0, v18, v22
	v_sub_f32_e32 v1, v26, v30
	;; [unrolled: 3-line block ×5, first 2 shown]
	v_add_f32_e32 v20, v0, v1
	v_add_f32_e32 v0, v22, v30
	v_fma_f32 v59, -0.5, v0, v34
	v_add_f32_e32 v0, v23, v31
	v_fma_f32 v56, -0.5, v0, v35
	v_sub_f32_e32 v54, v18, v26
	v_mov_b32_e32 v4, v56
	v_sub_f32_e32 v53, v19, v27
	v_mov_b32_e32 v1, v59
	v_fmac_f32_e32 v4, 0x3f737871, v54
	v_sub_f32_e32 v58, v22, v30
	v_fmac_f32_e32 v1, 0xbf737871, v53
	v_sub_f32_e32 v57, v23, v31
	v_fmac_f32_e32 v4, 0x3f167918, v58
	v_fmac_f32_e32 v1, 0xbf167918, v57
	;; [unrolled: 1-line block ×4, first 2 shown]
	v_mul_f32_e32 v0, 0xbf167918, v4
	v_fmac_f32_e32 v0, 0x3f4f1bbd, v1
	v_mul_f32_e32 v1, 0x3f167918, v1
	v_fmac_f32_e32 v1, 0x3f4f1bbd, v4
	v_add_f32_e32 v4, v18, v26
	v_fma_f32 v50, -0.5, v4, v34
	v_add_f32_e32 v4, v19, v27
	v_fma_f32 v55, -0.5, v4, v35
	v_mov_b32_e32 v5, v55
	v_mov_b32_e32 v8, v50
	v_fmac_f32_e32 v5, 0xbf737871, v58
	v_fmac_f32_e32 v8, 0x3f737871, v57
	;; [unrolled: 1-line block ×6, first 2 shown]
	v_mul_f32_e32 v4, 0xbf737871, v5
	v_mul_f32_e32 v5, 0x3e9e377a, v5
	v_fmac_f32_e32 v4, 0x3e9e377a, v8
	v_fmac_f32_e32 v5, 0x3f737871, v8
	v_add_f32_e32 v8, v6, v10
	v_add_f32_e32 v9, v2, v14
	;; [unrolled: 1-line block ×4, first 2 shown]
	v_fma_f32 v28, -0.5, v8, v38
	v_fma_f32 v52, -0.5, v9, v38
	;; [unrolled: 1-line block ×4, first 2 shown]
	v_sub_f32_e32 v61, v3, v15
	v_mov_b32_e32 v8, v28
	v_sub_f32_e32 v62, v7, v11
	v_mov_b32_e32 v9, v52
	;; [unrolled: 2-line block ×4, first 2 shown]
	v_fmac_f32_e32 v8, 0xbf737871, v61
	v_fmac_f32_e32 v9, 0x3f737871, v62
	;; [unrolled: 1-line block ×12, first 2 shown]
	v_sub_f32_e32 v32, v8, v0
	v_sub_f32_e32 v33, v21, v1
	;; [unrolled: 1-line block ×4, first 2 shown]
	s_and_saveexec_b64 s[2:3], vcc
	s_cbranch_execz .LBB0_19
; %bb.18:
	v_mul_f32_e32 v66, 0x3f737871, v63
	v_sub_f32_e32 v65, v65, v66
	v_mul_f32_e32 v66, 0x3f167918, v64
	v_sub_f32_e32 v65, v65, v66
	v_mul_f32_e32 v51, 0x3e9e377a, v51
	v_add_f32_e32 v51, v51, v65
	v_mul_f32_e32 v65, 0x3f737871, v53
	v_add_f32_e32 v59, v59, v65
	;; [unrolled: 2-line block ×3, first 2 shown]
	v_mul_f32_e32 v24, 0x3e9e377a, v24
	v_mul_f32_e32 v67, 0x3e9e377a, v12
	;; [unrolled: 1-line block ×3, first 2 shown]
	v_add_f32_e32 v24, v24, v59
	v_mul_f32_e32 v59, 0x3f737871, v54
	v_add_f32_e32 v3, v39, v3
	v_mul_f32_e32 v66, 0x3f737871, v61
	v_mul_f32_e32 v63, 0x3f167918, v63
	v_sub_f32_e32 v56, v56, v59
	v_mul_f32_e32 v59, 0x3f167918, v58
	v_add_f32_e32 v12, v12, v60
	v_add_f32_e32 v3, v3, v7
	v_mul_f32_e32 v65, 0x3f167918, v62
	v_mul_f32_e32 v16, 0x3e9e377a, v16
	;; [unrolled: 1-line block ×4, first 2 shown]
	v_sub_f32_e32 v56, v56, v59
	v_sub_f32_e32 v60, v12, v63
	v_add_f32_e32 v3, v3, v11
	v_add_f32_e32 v11, v28, v66
	;; [unrolled: 1-line block ×3, first 2 shown]
	v_mul_f32_e32 v53, 0x3f167918, v53
	v_add_f32_e32 v17, v17, v56
	v_add_f32_e32 v60, v16, v60
	v_sub_f32_e32 v16, v50, v57
	v_add_f32_e32 v7, v3, v15
	v_add_f32_e32 v3, v35, v19
	v_add_f32_e32 v11, v65, v11
	v_add_f32_e32 v2, v2, v6
	v_mul_f32_e32 v25, 0x3e9e377a, v25
	v_mul_f32_e32 v58, 0x3f737871, v58
	;; [unrolled: 1-line block ×3, first 2 shown]
	v_add_f32_e32 v16, v53, v16
	v_add_f32_e32 v3, v3, v23
	;; [unrolled: 1-line block ×3, first 2 shown]
	v_mul_f32_e32 v11, 0x3f167918, v17
	v_add_f32_e32 v2, v2, v10
	v_mul_f32_e32 v62, 0x3f737871, v62
	v_mul_f32_e32 v54, 0x3f167918, v54
	v_fmac_f32_e32 v56, 0x3f167918, v24
	v_add_f32_e32 v25, v25, v16
	v_add_f32_e32 v16, v58, v55
	v_fma_f32 v17, v24, s5, -v11
	v_add_f32_e32 v24, v2, v14
	v_add_f32_e32 v2, v34, v18
	v_mul_f32_e32 v61, 0x3f167918, v61
	v_mul_f32_e32 v20, 0x3e9e377a, v20
	v_sub_f32_e32 v16, v16, v54
	v_sub_f32_e32 v15, v52, v62
	v_add_f32_e32 v2, v2, v22
	v_mul_f32_e32 v13, 0x3e9e377a, v13
	v_mul_u32_u24_e32 v59, 0x48, v40
	v_add_f32_e32 v20, v20, v16
	v_add_f32_e32 v3, v3, v31
	;; [unrolled: 1-line block ×4, first 2 shown]
	v_mul_f32_e32 v50, 0xbe9e377a, v20
	v_add_f32_e32 v19, v3, v27
	v_add_f32_e32 v13, v13, v15
	v_mul_f32_e32 v15, 0x3f737871, v20
	v_add_f32_e32 v22, v2, v26
	v_add_f32_e32 v9, v9, v4
	v_add_u32_e32 v4, v44, v59
	v_fmac_f32_e32 v50, 0x3f737871, v25
	v_sub_f32_e32 v3, v7, v19
	v_sub_f32_e32 v11, v23, v17
	v_fma_f32 v20, v25, s4, -v15
	v_add_f32_e32 v10, v29, v5
	v_add_f32_e32 v1, v21, v1
	;; [unrolled: 1-line block ×6, first 2 shown]
	v_add_u32_e32 v7, 0x1c20, v4
	v_sub_f32_e32 v15, v13, v20
	v_add_f32_e32 v14, v60, v50
	v_add_f32_e32 v13, v13, v20
	ds_write2_b64 v7, v[17:18], v[0:1] offset1:1
	v_add_u32_e32 v0, 0x1c30, v4
	v_sub_f32_e32 v2, v24, v22
	v_add_f32_e32 v6, v51, v56
	ds_write2_b64 v0, v[9:10], v[13:14] offset1:1
	v_add_u32_e32 v0, 0x1c40, v4
	ds_write2_b64 v0, v[5:6], v[2:3] offset1:1
	v_add_u32_e32 v0, 0x1c50, v4
	v_sub_f32_e32 v12, v51, v56
	v_sub_f32_e32 v16, v60, v50
	ds_write2_b64 v0, v[32:33], v[36:37] offset1:1
	v_add_u32_e32 v0, 0x1c60, v4
	ds_write2_b64 v0, v[15:16], v[11:12] offset1:1
.LBB0_19:
	s_or_b64 exec, exec, s[2:3]
	s_movk_i32 s2, 0xcd
	v_mul_lo_u16_sdwa v0, v40, s2 dst_sel:DWORD dst_unused:UNUSED_PAD src0_sel:BYTE_0 src1_sel:DWORD
	v_lshrrev_b16_e32 v38, 11, v0
	v_mul_lo_u16_e32 v0, 10, v38
	v_sub_u16_e32 v39, v40, v0
	v_mov_b32_e32 v0, 15
	v_mul_u32_u24_sdwa v0, v39, v0 dst_sel:DWORD dst_unused:UNUSED_PAD src0_sel:BYTE_0 src1_sel:DWORD
	v_lshlrev_b32_e32 v28, 3, v0
	s_waitcnt lgkmcnt(0)
	s_barrier
	global_load_dwordx4 v[0:3], v28, s[8:9]
	global_load_dwordx4 v[4:7], v28, s[8:9] offset:16
	global_load_dwordx4 v[8:11], v28, s[8:9] offset:32
	;; [unrolled: 1-line block ×6, first 2 shown]
	global_load_dwordx2 v[34:35], v28, s[8:9] offset:112
	ds_read2_b64 v[28:31], v44 offset1:90
	v_add_u32_e32 v78, 0x400, v44
	ds_read2_b64 v[50:53], v41 offset0:104 offset1:194
	ds_read2_b64 v[54:57], v45 offset0:28 offset1:118
	;; [unrolled: 1-line block ×6, first 2 shown]
	v_add_u32_e32 v49, 0x2400, v44
	ds_read2_b64 v[74:77], v49 offset0:108 offset1:198
	s_waitcnt vmcnt(0) lgkmcnt(0)
	s_barrier
	v_cmp_gt_u32_e32 vcc, 30, v40
	v_mul_f32_e32 v49, v1, v31
	v_mul_f32_e32 v1, v1, v30
	;; [unrolled: 1-line block ×7, first 2 shown]
	v_fmac_f32_e32 v49, v0, v30
	v_fma_f32 v0, v0, v31, -v1
	v_fmac_f32_e32 v79, v2, v70
	v_fma_f32 v1, v2, v71, -v3
	v_mul_f32_e32 v2, v7, v50
	v_mul_f32_e32 v3, v53, v9
	;; [unrolled: 1-line block ×4, first 2 shown]
	v_fmac_f32_e32 v80, v4, v72
	v_fma_f32 v4, v4, v73, -v5
	v_mul_f32_e32 v5, v54, v11
	v_mul_f32_e32 v11, v57, v13
	v_mul_f32_e32 v13, v56, v13
	v_mul_f32_e32 v30, v59, v15
	v_fmac_f32_e32 v81, v6, v50
	v_fma_f32 v2, v6, v51, -v2
	v_mul_f32_e32 v6, v58, v15
	v_mul_f32_e32 v15, v61, v17
	v_mul_f32_e32 v31, v63, v19
	v_fmac_f32_e32 v3, v52, v8
	v_fma_f32 v7, v53, v8, -v7
	v_mul_f32_e32 v8, v62, v19
	v_mul_f32_e32 v19, v65, v21
	v_mul_f32_e32 v50, v67, v23
	;; [unrolled: 5-line block ×3, first 2 shown]
	v_fmac_f32_e32 v11, v56, v12
	v_fma_f32 v12, v57, v12, -v13
	v_mul_f32_e32 v13, v74, v27
	v_mul_f32_e32 v27, v77, v35
	v_fmac_f32_e32 v15, v60, v16
	v_fmac_f32_e32 v19, v64, v20
	;; [unrolled: 1-line block ×4, first 2 shown]
	v_mul_f32_e32 v17, v60, v17
	v_mul_f32_e32 v21, v64, v21
	;; [unrolled: 1-line block ×3, first 2 shown]
	v_fmac_f32_e32 v30, v58, v14
	v_fma_f32 v6, v59, v14, -v6
	v_fmac_f32_e32 v31, v62, v18
	v_fma_f32 v8, v63, v18, -v8
	v_fma_f32 v10, v67, v22, -v10
	;; [unrolled: 1-line block ×3, first 2 shown]
	v_sub_f32_e32 v15, v49, v15
	v_sub_f32_e32 v23, v3, v23
	;; [unrolled: 1-line block ×4, first 2 shown]
	v_mul_f32_e32 v35, v76, v35
	v_fma_f32 v14, v61, v16, -v17
	v_fma_f32 v16, v65, v20, -v21
	v_fmac_f32_e32 v50, v66, v22
	v_fma_f32 v17, v69, v24, -v25
	v_fmac_f32_e32 v51, v74, v26
	v_sub_f32_e32 v20, v28, v30
	v_sub_f32_e32 v6, v29, v6
	;; [unrolled: 1-line block ×6, first 2 shown]
	v_fma_f32 v30, v49, 2.0, -v15
	v_fma_f32 v3, v3, 2.0, -v23
	;; [unrolled: 1-line block ×4, first 2 shown]
	v_fma_f32 v18, v77, v34, -v35
	v_fma_f32 v22, v29, 2.0, -v6
	v_sub_f32_e32 v24, v81, v50
	v_fma_f32 v2, v2, 2.0, -v10
	v_fma_f32 v1, v1, 2.0, -v8
	;; [unrolled: 1-line block ×3, first 2 shown]
	v_sub_f32_e32 v17, v7, v17
	v_add_f32_e32 v10, v20, v10
	v_sub_f32_e32 v3, v30, v3
	v_sub_f32_e32 v11, v31, v11
	v_fma_f32 v21, v28, 2.0, -v20
	v_fma_f32 v25, v81, 2.0, -v24
	v_sub_f32_e32 v29, v9, v51
	v_sub_f32_e32 v14, v0, v14
	v_fma_f32 v7, v7, 2.0, -v17
	v_sub_f32_e32 v18, v12, v18
	v_sub_f32_e32 v2, v22, v2
	;; [unrolled: 1-line block ×3, first 2 shown]
	v_fma_f32 v20, v20, 2.0, -v10
	v_sub_f32_e32 v5, v1, v5
	v_add_f32_e32 v13, v26, v13
	v_fma_f32 v30, v30, 2.0, -v3
	v_add_f32_e32 v17, v15, v17
	v_fma_f32 v31, v31, 2.0, -v11
	v_fma_f32 v28, v79, 2.0, -v26
	;; [unrolled: 1-line block ×3, first 2 shown]
	v_sub_f32_e32 v16, v4, v16
	v_fma_f32 v12, v12, 2.0, -v18
	v_fma_f32 v22, v22, 2.0, -v2
	;; [unrolled: 1-line block ×4, first 2 shown]
	v_sub_f32_e32 v29, v8, v29
	v_fma_f32 v26, v26, 2.0, -v13
	v_sub_f32_e32 v23, v14, v23
	v_fma_f32 v15, v15, 2.0, -v17
	v_add_f32_e32 v18, v19, v18
	v_mov_b32_e32 v35, v20
	v_sub_f32_e32 v31, v30, v31
	v_fma_f32 v0, v0, 2.0, -v14
	v_fma_f32 v4, v4, 2.0, -v16
	;; [unrolled: 1-line block ×4, first 2 shown]
	v_sub_f32_e32 v27, v16, v27
	v_fma_f32 v19, v19, 2.0, -v18
	v_sub_f32_e32 v34, v22, v1
	v_fmac_f32_e32 v35, 0xbf3504f3, v26
	v_mov_b32_e32 v49, v6
	v_fma_f32 v1, v30, 2.0, -v31
	v_mov_b32_e32 v30, v15
	v_sub_f32_e32 v7, v0, v7
	v_sub_f32_e32 v12, v4, v12
	v_fma_f32 v16, v16, 2.0, -v27
	v_fmac_f32_e32 v49, 0xbf3504f3, v8
	v_fmac_f32_e32 v35, 0x3f3504f3, v8
	;; [unrolled: 1-line block ×3, first 2 shown]
	v_mov_b32_e32 v55, v14
	v_fma_f32 v0, v0, 2.0, -v7
	v_fma_f32 v4, v4, 2.0, -v12
	v_fmac_f32_e32 v49, 0xbf3504f3, v26
	v_fma_f32 v8, v20, 2.0, -v35
	v_mov_b32_e32 v52, v10
	v_mov_b32_e32 v53, v24
	v_fmac_f32_e32 v55, 0xbf3504f3, v16
	v_fmac_f32_e32 v30, 0x3f3504f3, v16
	v_sub_f32_e32 v25, v21, v25
	v_sub_f32_e32 v9, v28, v9
	v_fma_f32 v20, v6, 2.0, -v49
	v_fmac_f32_e32 v52, 0x3f3504f3, v13
	v_fmac_f32_e32 v53, 0x3f3504f3, v29
	v_sub_f32_e32 v54, v0, v4
	v_fmac_f32_e32 v55, 0xbf3504f3, v19
	v_fma_f32 v6, v15, 2.0, -v30
	v_mov_b32_e32 v58, v17
	v_mov_b32_e32 v59, v23
	;; [unrolled: 1-line block ×3, first 2 shown]
	v_fma_f32 v28, v28, 2.0, -v9
	v_add_f32_e32 v26, v25, v5
	v_sub_f32_e32 v50, v2, v9
	v_fmac_f32_e32 v52, 0x3f3504f3, v29
	v_fmac_f32_e32 v53, 0xbf3504f3, v13
	v_fma_f32 v9, v14, 2.0, -v55
	v_fmac_f32_e32 v58, 0x3f3504f3, v18
	v_fmac_f32_e32 v59, 0x3f3504f3, v27
	;; [unrolled: 1-line block ×3, first 2 shown]
	v_mov_b32_e32 v5, v20
	v_fma_f32 v21, v21, 2.0, -v25
	v_fma_f32 v25, v25, 2.0, -v26
	v_fma_f32 v29, v10, 2.0, -v52
	v_fma_f32 v24, v24, 2.0, -v53
	v_add_f32_e32 v56, v3, v12
	v_fmac_f32_e32 v58, 0x3f3504f3, v27
	v_fmac_f32_e32 v59, 0xbf3504f3, v18
	;; [unrolled: 1-line block ×4, first 2 shown]
	v_sub_f32_e32 v28, v21, v28
	v_fma_f32 v51, v2, 2.0, -v50
	v_sub_f32_e32 v57, v7, v11
	v_fma_f32 v10, v3, 2.0, -v56
	v_fma_f32 v14, v17, 2.0, -v58
	;; [unrolled: 1-line block ×3, first 2 shown]
	v_fmac_f32_e32 v5, 0xbec3ef15, v6
	v_fma_f32 v6, v8, 2.0, -v4
	v_mov_b32_e32 v8, v25
	v_mov_b32_e32 v12, v29
	;; [unrolled: 1-line block ×3, first 2 shown]
	v_fma_f32 v21, v21, 2.0, -v28
	v_fma_f32 v11, v7, 2.0, -v57
	v_fmac_f32_e32 v8, 0xbf3504f3, v10
	v_mov_b32_e32 v9, v51
	v_fmac_f32_e32 v12, 0xbec3ef15, v14
	v_fmac_f32_e32 v13, 0xbec3ef15, v15
	v_fma_f32 v22, v22, 2.0, -v34
	v_fma_f32 v2, v0, 2.0, -v54
	v_sub_f32_e32 v0, v21, v1
	v_fmac_f32_e32 v9, 0xbf3504f3, v11
	v_fmac_f32_e32 v8, 0x3f3504f3, v11
	;; [unrolled: 1-line block ×4, first 2 shown]
	v_add_f32_e32 v16, v28, v54
	v_sub_f32_e32 v1, v22, v2
	v_fma_f32 v2, v21, 2.0, -v0
	v_fma_f32 v7, v20, 2.0, -v5
	v_fmac_f32_e32 v9, 0xbf3504f3, v10
	v_fma_f32 v10, v25, 2.0, -v8
	v_fma_f32 v14, v29, 2.0, -v12
	;; [unrolled: 1-line block ×3, first 2 shown]
	v_sub_f32_e32 v17, v34, v31
	v_fma_f32 v18, v28, 2.0, -v16
	v_mov_b32_e32 v20, v35
	v_mov_b32_e32 v21, v49
	;; [unrolled: 1-line block ×6, first 2 shown]
	v_fma_f32 v19, v34, 2.0, -v17
	v_fmac_f32_e32 v20, 0x3ec3ef15, v30
	v_fmac_f32_e32 v21, 0x3ec3ef15, v55
	;; [unrolled: 1-line block ×6, first 2 shown]
	v_mul_u32_u24_e32 v34, 0xa0, v38
	v_fmac_f32_e32 v20, 0x3f6c835e, v55
	v_fmac_f32_e32 v21, 0xbf6c835e, v30
	;; [unrolled: 1-line block ×6, first 2 shown]
	v_or_b32_sdwa v34, v34, v39 dst_sel:DWORD dst_unused:UNUSED_PAD src0_sel:DWORD src1_sel:BYTE_0
	v_fma_f32 v3, v22, 2.0, -v1
	v_fma_f32 v11, v51, 2.0, -v9
	;; [unrolled: 1-line block ×8, first 2 shown]
	v_lshl_add_u32 v34, v34, 3, 0
	ds_write2_b64 v34, v[2:3], v[6:7] offset1:10
	ds_write2_b64 v34, v[10:11], v[14:15] offset0:20 offset1:30
	ds_write2_b64 v34, v[18:19], v[22:23] offset0:40 offset1:50
	;; [unrolled: 1-line block ×7, first 2 shown]
	s_waitcnt lgkmcnt(0)
	s_barrier
	ds_read2_b64 v[8:11], v44 offset1:90
	ds_read2_b64 v[0:3], v41 offset0:104 offset1:224
	ds_read2_b64 v[12:15], v48 offset0:64 offset1:154
	;; [unrolled: 1-line block ×6, first 2 shown]
	ds_read_b64 v[30:31], v44 offset:10560
	s_and_saveexec_b64 s[2:3], vcc
	s_cbranch_execz .LBB0_21
; %bb.20:
	ds_read_b64 v[28:29], v44 offset:3600
	ds_read_b64 v[32:33], v44 offset:7440
	;; [unrolled: 1-line block ×3, first 2 shown]
.LBB0_21:
	s_or_b64 exec, exec, s[2:3]
	v_lshlrev_b32_e32 v51, 1, v40
	v_mov_b32_e32 v52, 0
	v_lshlrev_b64 v[34:35], 3, v[51:52]
	v_mov_b32_e32 v38, s9
	v_add_co_u32_e64 v34, s[2:3], s8, v34
	v_addc_co_u32_e64 v35, s[2:3], v38, v35, s[2:3]
	s_movk_i32 s2, 0x46
	v_add_u32_e32 v45, 0x5a, v40
	v_add_u32_e32 v41, 0xffffffba, v40
	v_cmp_gt_u32_e64 s[2:3], s2, v40
	v_add_u32_e32 v51, 40, v51
	v_cndmask_b32_e64 v71, v41, v45, s[2:3]
	v_mov_b32_e32 v54, v52
	v_lshlrev_b64 v[51:52], 3, v[51:52]
	v_lshlrev_b32_e32 v53, 1, v71
	v_lshlrev_b64 v[55:56], 3, v[53:54]
	v_add_co_u32_e64 v51, s[2:3], s8, v51
	v_addc_co_u32_e64 v52, s[2:3], v38, v52, s[2:3]
	v_add_co_u32_e64 v55, s[2:3], s8, v55
	v_addc_co_u32_e64 v56, s[2:3], v38, v56, s[2:3]
	v_add_u32_e32 v39, 0x10e, v40
	s_mov_b32 s2, 0xcccd
	v_mul_u32_u24_sdwa v38, v39, s2 dst_sel:DWORD dst_unused:UNUSED_PAD src0_sel:WORD_0 src1_sel:DWORD
	v_lshrrev_b32_e32 v72, 23, v38
	v_mul_lo_u16_e32 v38, 0xa0, v72
	v_sub_u16_e32 v73, v39, v38
	v_add_u32_e32 v41, 0x168, v40
	v_lshlrev_b32_e32 v38, 4, v73
	global_load_dwordx4 v[47:50], v[34:35], off offset:1200
	global_load_dwordx4 v[59:62], v38, s[8:9] offset:1200
	v_mul_u32_u24_sdwa v38, v41, s2 dst_sel:DWORD dst_unused:UNUSED_PAD src0_sel:WORD_0 src1_sel:DWORD
	v_lshrrev_b32_e32 v38, 23, v38
	v_mul_lo_u16_e32 v38, 0xa0, v38
	v_sub_u16_e32 v74, v41, v38
	v_lshlrev_b32_e32 v38, 4, v74
	global_load_dwordx4 v[51:54], v[51:52], off offset:1200
	s_waitcnt vmcnt(2) lgkmcnt(6)
	v_mul_f32_e32 v75, v48, v3
	global_load_dwordx4 v[63:66], v38, s[8:9] offset:1200
	v_add_u32_e32 v38, 0x1c2, v40
	v_mul_u32_u24_sdwa v46, v38, s2 dst_sel:DWORD dst_unused:UNUSED_PAD src0_sel:WORD_0 src1_sel:DWORD
	v_lshrrev_b32_e32 v46, 23, v46
	v_mul_lo_u16_e32 v46, 0xa0, v46
	global_load_dwordx4 v[55:58], v[55:56], off offset:1200
	v_sub_u16_e32 v46, v38, v46
	v_lshlrev_b32_e32 v67, 4, v46
	global_load_dwordx4 v[67:70], v67, s[8:9] offset:1200
	v_mul_f32_e32 v48, v48, v2
	s_waitcnt lgkmcnt(5)
	v_mul_f32_e32 v76, v50, v13
	v_mul_f32_e32 v50, v50, v12
	v_fmac_f32_e32 v75, v47, v2
	v_fma_f32 v47, v47, v3, -v48
	s_waitcnt vmcnt(3) lgkmcnt(4)
	v_mul_f32_e32 v48, v52, v27
	v_mul_f32_e32 v2, v52, v26
	v_fmac_f32_e32 v76, v49, v12
	v_fma_f32 v13, v49, v13, -v50
	s_waitcnt lgkmcnt(2)
	v_mul_f32_e32 v49, v54, v17
	v_mul_f32_e32 v3, v54, v16
	v_fmac_f32_e32 v48, v51, v26
	v_fma_f32 v26, v51, v27, -v2
	v_fmac_f32_e32 v49, v53, v16
	v_fma_f32 v27, v53, v17, -v3
	s_waitcnt lgkmcnt(1)
	v_mul_f32_e32 v3, v60, v20
	v_mul_f32_e32 v51, v60, v21
	v_fmac_f32_e32 v51, v59, v20
	s_movk_i32 s2, 0x45
	s_waitcnt vmcnt(0) lgkmcnt(0)
	s_barrier
	v_cmp_lt_u32_e64 s[2:3], s2, v40
	v_mul_f32_e32 v54, v31, v66
	v_fmac_f32_e32 v54, v30, v65
	v_mul_f32_e32 v16, v22, v64
	v_mul_f32_e32 v52, v23, v64
	v_fmac_f32_e32 v52, v22, v63
	v_mul_f32_e32 v2, v58, v14
	v_fma_f32 v53, v57, v15, -v2
	v_mul_f32_e32 v2, v30, v66
	v_mul_f32_e32 v50, v56, v25
	;; [unrolled: 1-line block ×3, first 2 shown]
	v_fma_f32 v30, v31, v65, -v2
	v_mul_f32_e32 v2, v32, v68
	v_mul_f32_e32 v17, v58, v15
	v_fmac_f32_e32 v50, v55, v24
	v_fma_f32 v24, v55, v25, -v12
	v_fma_f32 v55, v59, v21, -v3
	v_mul_f32_e32 v58, v33, v68
	v_fma_f32 v33, v33, v67, -v2
	v_mul_f32_e32 v2, v36, v70
	v_add_f32_e32 v3, v75, v76
	v_mul_f32_e32 v12, v18, v62
	v_fma_f32 v60, v37, v69, -v2
	v_add_f32_e32 v2, v8, v75
	v_fma_f32 v8, -0.5, v3, v8
	v_fma_f32 v56, v19, v61, -v12
	v_sub_f32_e32 v3, v47, v13
	v_mov_b32_e32 v12, v8
	v_fmac_f32_e32 v12, 0xbf5db3d7, v3
	v_fmac_f32_e32 v8, 0x3f5db3d7, v3
	v_add_f32_e32 v3, v9, v47
	v_add_f32_e32 v3, v3, v13
	;; [unrolled: 1-line block ×3, first 2 shown]
	v_fmac_f32_e32 v17, v57, v14
	v_fma_f32 v9, -0.5, v13, v9
	v_sub_f32_e32 v14, v75, v76
	v_mov_b32_e32 v13, v9
	v_add_f32_e32 v15, v50, v17
	v_mul_f32_e32 v25, v19, v62
	v_fmac_f32_e32 v13, 0x3f5db3d7, v14
	v_fmac_f32_e32 v9, 0xbf5db3d7, v14
	v_add_f32_e32 v14, v10, v50
	v_fma_f32 v10, -0.5, v15, v10
	v_fmac_f32_e32 v25, v18, v61
	v_fma_f32 v57, v23, v63, -v16
	v_sub_f32_e32 v15, v24, v53
	v_mov_b32_e32 v16, v10
	v_add_f32_e32 v18, v24, v53
	v_fmac_f32_e32 v16, 0xbf5db3d7, v15
	v_fmac_f32_e32 v10, 0x3f5db3d7, v15
	v_add_f32_e32 v15, v11, v24
	v_fmac_f32_e32 v11, -0.5, v18
	v_add_f32_e32 v14, v14, v17
	v_sub_f32_e32 v18, v50, v17
	v_mov_b32_e32 v17, v11
	v_add_f32_e32 v19, v48, v49
	v_fmac_f32_e32 v17, 0x3f5db3d7, v18
	v_fmac_f32_e32 v11, 0xbf5db3d7, v18
	v_add_f32_e32 v18, v4, v48
	v_fma_f32 v4, -0.5, v19, v4
	v_sub_f32_e32 v19, v26, v27
	v_mov_b32_e32 v20, v4
	v_add_f32_e32 v21, v26, v27
	v_fmac_f32_e32 v20, 0xbf5db3d7, v19
	v_fmac_f32_e32 v4, 0x3f5db3d7, v19
	v_add_f32_e32 v19, v5, v26
	v_fma_f32 v5, -0.5, v21, v5
	v_sub_f32_e32 v22, v48, v49
	v_mov_b32_e32 v21, v5
	v_add_f32_e32 v23, v51, v25
	v_fmac_f32_e32 v21, 0x3f5db3d7, v22
	v_fmac_f32_e32 v5, 0xbf5db3d7, v22
	v_add_f32_e32 v22, v6, v51
	v_fma_f32 v6, -0.5, v23, v6
	v_sub_f32_e32 v23, v55, v56
	v_mov_b32_e32 v24, v6
	v_add_f32_e32 v26, v55, v56
	v_fmac_f32_e32 v24, 0xbf5db3d7, v23
	v_fmac_f32_e32 v6, 0x3f5db3d7, v23
	v_add_f32_e32 v23, v7, v55
	v_fmac_f32_e32 v7, -0.5, v26
	v_add_f32_e32 v19, v19, v27
	v_add_f32_e32 v22, v22, v25
	v_sub_f32_e32 v26, v51, v25
	v_mov_b32_e32 v25, v7
	v_add_f32_e32 v27, v52, v54
	v_mul_f32_e32 v59, v37, v70
	v_fmac_f32_e32 v25, 0x3f5db3d7, v26
	v_fmac_f32_e32 v7, 0xbf5db3d7, v26
	v_add_f32_e32 v26, v0, v52
	v_fma_f32 v0, -0.5, v27, v0
	v_fmac_f32_e32 v59, v36, v69
	v_sub_f32_e32 v27, v57, v30
	v_mov_b32_e32 v36, v0
	v_fmac_f32_e32 v36, 0xbf5db3d7, v27
	v_fmac_f32_e32 v0, 0x3f5db3d7, v27
	v_add_f32_e32 v27, v1, v57
	v_add_f32_e32 v2, v2, v76
	;; [unrolled: 1-line block ×4, first 2 shown]
	v_fmac_f32_e32 v58, v32, v67
	v_fmac_f32_e32 v1, -0.5, v30
	ds_write2_b64 v44, v[2:3], v[12:13] offset1:160
	ds_write_b64 v44, v[8:9] offset:2560
	v_mov_b32_e32 v2, 0xf00
	v_sub_f32_e32 v30, v52, v54
	v_mov_b32_e32 v37, v1
	v_add_f32_e32 v31, v58, v59
	v_cndmask_b32_e64 v2, 0, v2, s[2:3]
	v_lshlrev_b32_e32 v3, 3, v71
	v_add_f32_e32 v15, v15, v53
	v_fmac_f32_e32 v37, 0x3f5db3d7, v30
	v_fmac_f32_e32 v1, 0xbf5db3d7, v30
	v_add_f32_e32 v30, v28, v58
	v_fmac_f32_e32 v28, -0.5, v31
	v_add3_u32 v2, 0, v2, v3
	v_add_f32_e32 v18, v18, v49
	v_sub_f32_e32 v31, v33, v60
	v_mov_b32_e32 v32, v28
	ds_write2_b64 v2, v[14:15], v[16:17] offset1:160
	ds_write_b64 v2, v[10:11] offset:2560
	v_add_u32_e32 v2, 0xe00, v44
	v_fmac_f32_e32 v32, 0xbf5db3d7, v31
	v_fmac_f32_e32 v28, 0x3f5db3d7, v31
	v_add_f32_e32 v31, v29, v33
	v_add_f32_e32 v33, v33, v60
	ds_write2_b64 v2, v[18:19], v[20:21] offset0:52 offset1:212
	ds_write_b64 v44, v[4:5] offset:6560
	v_mul_u32_u24_e32 v2, 0xf00, v72
	v_lshlrev_b32_e32 v3, 3, v73
	v_add_f32_e32 v23, v23, v56
	v_fmac_f32_e32 v29, -0.5, v33
	v_add3_u32 v2, 0, v2, v3
	v_sub_f32_e32 v47, v58, v59
	v_mov_b32_e32 v33, v29
	ds_write2_b64 v2, v[22:23], v[24:25] offset1:160
	ds_write_b64 v2, v[6:7] offset:2560
	v_lshl_add_u32 v2, v74, 3, 0
	v_add_f32_e32 v26, v26, v54
	v_add_f32_e32 v30, v30, v59
	;; [unrolled: 1-line block ×3, first 2 shown]
	v_fmac_f32_e32 v33, 0x3f5db3d7, v47
	v_fmac_f32_e32 v29, 0xbf5db3d7, v47
	v_add_u32_e32 v3, 0x1c00, v2
	ds_write2_b64 v3, v[26:27], v[36:37] offset0:64 offset1:224
	ds_write_b64 v2, v[0:1] offset:10240
	s_and_saveexec_b64 s[2:3], vcc
	s_cbranch_execz .LBB0_23
; %bb.22:
	v_lshl_add_u32 v0, v46, 3, 0
	v_add_u32_e32 v1, 0x1c00, v0
	ds_write2_b64 v1, v[30:31], v[32:33] offset0:64 offset1:224
	ds_write_b64 v0, v[28:29] offset:10240
.LBB0_23:
	s_or_b64 exec, exec, s[2:3]
	v_add_u32_e32 v46, 0x800, v44
	v_add_u32_e32 v8, 0x1c00, v44
	;; [unrolled: 1-line block ×6, first 2 shown]
	s_waitcnt lgkmcnt(0)
	s_barrier
	ds_read2_b64 v[4:7], v44 offset1:90
	ds_read2_b64 v[0:3], v46 offset0:104 offset1:224
	ds_read2_b64 v[24:27], v8 offset0:64 offset1:154
	;; [unrolled: 1-line block ×6, first 2 shown]
	ds_read_b64 v[36:37], v44 offset:10560
	s_and_saveexec_b64 s[2:3], vcc
	s_cbranch_execz .LBB0_25
; %bb.24:
	ds_read_b64 v[30:31], v44 offset:3600
	ds_read_b64 v[32:33], v44 offset:7440
	;; [unrolled: 1-line block ×3, first 2 shown]
.LBB0_25:
	s_or_b64 exec, exec, s[2:3]
	global_load_dwordx4 v[51:54], v[34:35], off offset:3760
	v_lshlrev_b32_e32 v34, 1, v45
	v_mov_b32_e32 v35, 0
	v_lshlrev_b64 v[55:56], 3, v[34:35]
	v_mov_b32_e32 v34, 0x168
	v_lshl_add_u32 v34, v40, 1, v34
	v_mov_b32_e32 v45, s9
	v_add_co_u32_e64 v55, s[2:3], s8, v55
	v_lshlrev_b64 v[59:60], 3, v[34:35]
	v_addc_co_u32_e64 v56, s[2:3], v45, v56, s[2:3]
	v_lshlrev_b32_e32 v34, 1, v39
	v_add_co_u32_e64 v59, s[2:3], s8, v59
	v_lshlrev_b64 v[63:64], 3, v[34:35]
	v_addc_co_u32_e64 v60, s[2:3], v45, v60, s[2:3]
	v_lshlrev_b32_e32 v34, 1, v41
	v_add_co_u32_e64 v63, s[2:3], s8, v63
	v_lshlrev_b64 v[67:68], 3, v[34:35]
	global_load_dwordx4 v[55:58], v[55:56], off offset:3760
	v_addc_co_u32_e64 v64, s[2:3], v45, v64, s[2:3]
	global_load_dwordx4 v[59:62], v[59:60], off offset:3760
	v_add_co_u32_e64 v67, s[2:3], s8, v67
	global_load_dwordx4 v[63:66], v[63:64], off offset:3760
	v_addc_co_u32_e64 v68, s[2:3], v45, v68, s[2:3]
	global_load_dwordx4 v[67:70], v[67:68], off offset:3760
	s_waitcnt vmcnt(0) lgkmcnt(0)
	s_barrier
	v_mul_f32_e32 v34, v52, v3
	v_mul_f32_e32 v39, v52, v2
	;; [unrolled: 1-line block ×4, first 2 shown]
	v_fmac_f32_e32 v34, v51, v2
	v_fma_f32 v2, v51, v3, -v39
	v_fmac_f32_e32 v41, v53, v24
	v_fma_f32 v3, v53, v25, -v45
	v_add_f32_e32 v24, v4, v34
	v_add_f32_e32 v45, v5, v2
	;; [unrolled: 1-line block ×3, first 2 shown]
	v_sub_f32_e32 v39, v2, v3
	v_add_f32_e32 v51, v2, v3
	v_sub_f32_e32 v34, v34, v41
	v_add_f32_e32 v2, v24, v41
	v_add_f32_e32 v3, v45, v3
	v_fma_f32 v5, -0.5, v51, v5
	v_fma_f32 v4, -0.5, v25, v4
	v_mov_b32_e32 v24, v4
	v_fmac_f32_e32 v4, 0x3f5db3d7, v39
	v_fmac_f32_e32 v24, 0xbf5db3d7, v39
	v_mov_b32_e32 v25, v5
	v_mul_f32_e32 v41, v56, v21
	v_mul_f32_e32 v45, v56, v20
	;; [unrolled: 1-line block ×4, first 2 shown]
	v_fmac_f32_e32 v41, v55, v20
	v_fma_f32 v20, v55, v21, -v45
	v_mul_f32_e32 v45, v62, v17
	v_fmac_f32_e32 v51, v57, v26
	v_fma_f32 v21, v57, v27, -v52
	v_mul_f32_e32 v26, v60, v23
	v_mul_f32_e32 v27, v60, v22
	;; [unrolled: 1-line block ×3, first 2 shown]
	v_fmac_f32_e32 v45, v61, v16
	v_mul_f32_e32 v16, v64, v12
	v_fmac_f32_e32 v26, v59, v22
	v_fma_f32 v22, v59, v23, -v27
	v_fma_f32 v23, v61, v17, -v52
	v_mul_f32_e32 v27, v64, v13
	v_fma_f32 v52, v63, v13, -v16
	v_mul_f32_e32 v13, v36, v70
	v_mul_f32_e32 v55, v37, v70
	v_fma_f32 v37, v37, v69, -v13
	v_add_f32_e32 v13, v41, v51
	v_add_f32_e32 v39, v6, v41
	v_fmac_f32_e32 v27, v63, v12
	v_mul_f32_e32 v54, v15, v68
	v_mul_f32_e32 v12, v14, v68
	v_fma_f32 v6, -0.5, v13, v6
	v_fmac_f32_e32 v54, v14, v67
	v_fma_f32 v56, v15, v67, -v12
	v_sub_f32_e32 v13, v20, v21
	v_mov_b32_e32 v14, v6
	v_add_f32_e32 v15, v20, v21
	v_mul_f32_e32 v17, v18, v66
	v_fmac_f32_e32 v14, 0xbf5db3d7, v13
	v_fmac_f32_e32 v6, 0x3f5db3d7, v13
	v_add_f32_e32 v13, v7, v20
	v_fmac_f32_e32 v7, -0.5, v15
	v_fma_f32 v53, v19, v65, -v17
	v_sub_f32_e32 v16, v41, v51
	v_mov_b32_e32 v15, v7
	v_add_f32_e32 v17, v26, v45
	v_fmac_f32_e32 v5, 0xbf5db3d7, v34
	v_fmac_f32_e32 v25, 0x3f5db3d7, v34
	v_mul_f32_e32 v34, v19, v66
	v_fmac_f32_e32 v15, 0x3f5db3d7, v16
	v_fmac_f32_e32 v7, 0xbf5db3d7, v16
	v_add_f32_e32 v16, v8, v26
	v_fma_f32 v8, -0.5, v17, v8
	v_fmac_f32_e32 v34, v18, v65
	v_sub_f32_e32 v17, v22, v23
	v_mov_b32_e32 v18, v8
	v_add_f32_e32 v19, v22, v23
	v_fmac_f32_e32 v18, 0xbf5db3d7, v17
	v_fmac_f32_e32 v8, 0x3f5db3d7, v17
	v_add_f32_e32 v17, v9, v22
	v_fma_f32 v9, -0.5, v19, v9
	v_add_f32_e32 v13, v13, v21
	v_sub_f32_e32 v20, v26, v45
	v_mov_b32_e32 v19, v9
	v_add_f32_e32 v21, v27, v34
	v_fmac_f32_e32 v19, 0x3f5db3d7, v20
	v_fmac_f32_e32 v9, 0xbf5db3d7, v20
	v_add_f32_e32 v20, v10, v27
	v_fma_f32 v10, -0.5, v21, v10
	v_add_f32_e32 v17, v17, v23
	v_sub_f32_e32 v21, v52, v53
	v_mov_b32_e32 v22, v10
	v_add_f32_e32 v23, v52, v53
	v_fmac_f32_e32 v55, v36, v69
	v_fmac_f32_e32 v22, 0xbf5db3d7, v21
	;; [unrolled: 1-line block ×3, first 2 shown]
	v_add_f32_e32 v21, v11, v52
	v_fmac_f32_e32 v11, -0.5, v23
	v_sub_f32_e32 v26, v27, v34
	v_mov_b32_e32 v23, v11
	v_add_f32_e32 v27, v54, v55
	v_fmac_f32_e32 v23, 0x3f5db3d7, v26
	v_fmac_f32_e32 v11, 0xbf5db3d7, v26
	v_add_f32_e32 v26, v0, v54
	v_fma_f32 v0, -0.5, v27, v0
	v_add_f32_e32 v20, v20, v34
	v_sub_f32_e32 v27, v56, v37
	v_mov_b32_e32 v36, v0
	v_add_f32_e32 v34, v56, v37
	v_add_f32_e32 v12, v39, v51
	v_fmac_f32_e32 v36, 0xbf5db3d7, v27
	v_fmac_f32_e32 v0, 0x3f5db3d7, v27
	v_add_f32_e32 v27, v1, v56
	v_fmac_f32_e32 v1, -0.5, v34
	v_add_f32_e32 v27, v27, v37
	v_sub_f32_e32 v34, v54, v55
	v_mov_b32_e32 v37, v1
	ds_write2_b64 v44, v[2:3], v[12:13] offset1:90
	v_add_u32_e32 v2, 0x1c00, v44
	v_add_f32_e32 v16, v16, v45
	v_add_f32_e32 v21, v21, v53
	;; [unrolled: 1-line block ×3, first 2 shown]
	v_fmac_f32_e32 v37, 0x3f5db3d7, v34
	v_fmac_f32_e32 v1, 0xbf5db3d7, v34
	ds_write2_b64 v2, v[4:5], v[6:7] offset0:64 offset1:154
	ds_write2_b64 v50, v[14:15], v[18:19] offset0:58 offset1:148
	;; [unrolled: 1-line block ×6, first 2 shown]
	ds_write_b64 v44, v[0:1] offset:10560
	s_and_saveexec_b64 s[2:3], vcc
	s_cbranch_execz .LBB0_27
; %bb.26:
	v_subrev_u32_e32 v0, 30, v40
	v_cndmask_b32_e32 v0, v0, v38, vcc
	v_lshlrev_b32_e32 v34, 1, v0
	v_lshlrev_b64 v[0:1], 3, v[34:35]
	v_mov_b32_e32 v2, s9
	v_add_co_u32_e32 v0, vcc, s8, v0
	v_addc_co_u32_e32 v1, vcc, v2, v1, vcc
	global_load_dwordx4 v[0:3], v[0:1], off offset:3760
	s_waitcnt vmcnt(0)
	v_mul_f32_e32 v4, v32, v1
	v_mul_f32_e32 v5, v28, v3
	;; [unrolled: 1-line block ×4, first 2 shown]
	v_fma_f32 v3, v33, v0, -v4
	v_fma_f32 v4, v29, v2, -v5
	v_fmac_f32_e32 v1, v32, v0
	v_fmac_f32_e32 v6, v28, v2
	v_add_f32_e32 v0, v3, v4
	v_add_f32_e32 v5, v1, v6
	v_sub_f32_e32 v7, v1, v6
	v_add_f32_e32 v2, v31, v3
	v_sub_f32_e32 v8, v3, v4
	v_add_f32_e32 v9, v30, v1
	v_fma_f32 v1, -0.5, v0, v31
	v_fma_f32 v0, -0.5, v5, v30
	v_add_f32_e32 v3, v2, v4
	v_add_f32_e32 v2, v9, v6
	v_mov_b32_e32 v5, v1
	v_fmac_f32_e32 v1, 0x3f5db3d7, v7
	v_mov_b32_e32 v4, v0
	v_fmac_f32_e32 v0, 0xbf5db3d7, v8
	ds_write_b64 v44, v[2:3] offset:3600
	v_fmac_f32_e32 v5, 0xbf5db3d7, v7
	v_fmac_f32_e32 v4, 0x3f5db3d7, v8
	ds_write_b64 v44, v[0:1] offset:7440
	ds_write_b64 v44, v[4:5] offset:11280
.LBB0_27:
	s_or_b64 exec, exec, s[2:3]
	s_waitcnt lgkmcnt(0)
	s_barrier
	s_and_saveexec_b64 s[2:3], s[0:1]
	s_cbranch_execz .LBB0_29
; %bb.28:
	v_lshl_add_u32 v6, v40, 3, 0
	v_mov_b32_e32 v41, 0
	ds_read2_b64 v[0:3], v6 offset1:90
	v_mov_b32_e32 v4, s13
	v_add_co_u32_e32 v7, vcc, s12, v42
	v_addc_co_u32_e32 v8, vcc, v4, v43, vcc
	v_lshlrev_b64 v[4:5], 3, v[40:41]
	v_add_co_u32_e32 v4, vcc, v7, v4
	v_addc_co_u32_e32 v5, vcc, v8, v5, vcc
	s_waitcnt lgkmcnt(0)
	global_store_dwordx2 v[4:5], v[0:1], off
	v_add_u32_e32 v0, 0x5a, v40
	v_mov_b32_e32 v1, v41
	v_lshlrev_b64 v[0:1], 3, v[0:1]
	v_add_u32_e32 v4, 0xb4, v40
	v_add_co_u32_e32 v0, vcc, v7, v0
	v_addc_co_u32_e32 v1, vcc, v8, v1, vcc
	global_store_dwordx2 v[0:1], v[2:3], off
	v_add_u32_e32 v0, 0x400, v6
	v_mov_b32_e32 v5, v41
	ds_read2_b64 v[0:3], v0 offset0:52 offset1:142
	v_lshlrev_b64 v[4:5], 3, v[4:5]
	v_add_co_u32_e32 v4, vcc, v7, v4
	v_addc_co_u32_e32 v5, vcc, v8, v5, vcc
	s_waitcnt lgkmcnt(0)
	global_store_dwordx2 v[4:5], v[0:1], off
	v_add_u32_e32 v0, 0x10e, v40
	v_mov_b32_e32 v1, v41
	v_lshlrev_b64 v[0:1], 3, v[0:1]
	v_add_u32_e32 v4, 0x168, v40
	v_add_co_u32_e32 v0, vcc, v7, v0
	v_addc_co_u32_e32 v1, vcc, v8, v1, vcc
	global_store_dwordx2 v[0:1], v[2:3], off
	v_add_u32_e32 v0, 0x800, v6
	v_mov_b32_e32 v5, v41
	ds_read2_b64 v[0:3], v0 offset0:104 offset1:194
	;; [unrolled: 15-line block ×7, first 2 shown]
	v_lshlrev_b64 v[4:5], 3, v[4:5]
	v_add_u32_e32 v40, 0x546, v40
	v_add_co_u32_e32 v4, vcc, v7, v4
	v_addc_co_u32_e32 v5, vcc, v8, v5, vcc
	s_waitcnt lgkmcnt(0)
	global_store_dwordx2 v[4:5], v[0:1], off
	v_lshlrev_b64 v[0:1], 3, v[40:41]
	v_add_co_u32_e32 v0, vcc, v7, v0
	v_addc_co_u32_e32 v1, vcc, v8, v1, vcc
	global_store_dwordx2 v[0:1], v[2:3], off
.LBB0_29:
	s_endpgm
	.section	.rodata,"a",@progbits
	.p2align	6, 0x0
	.amdhsa_kernel fft_rtc_back_len1440_factors_10_16_3_3_wgs_90_tpt_90_halfLds_sp_ip_CI_unitstride_sbrr_C2R_dirReg
		.amdhsa_group_segment_fixed_size 0
		.amdhsa_private_segment_fixed_size 0
		.amdhsa_kernarg_size 88
		.amdhsa_user_sgpr_count 6
		.amdhsa_user_sgpr_private_segment_buffer 1
		.amdhsa_user_sgpr_dispatch_ptr 0
		.amdhsa_user_sgpr_queue_ptr 0
		.amdhsa_user_sgpr_kernarg_segment_ptr 1
		.amdhsa_user_sgpr_dispatch_id 0
		.amdhsa_user_sgpr_flat_scratch_init 0
		.amdhsa_user_sgpr_private_segment_size 0
		.amdhsa_uses_dynamic_stack 0
		.amdhsa_system_sgpr_private_segment_wavefront_offset 0
		.amdhsa_system_sgpr_workgroup_id_x 1
		.amdhsa_system_sgpr_workgroup_id_y 0
		.amdhsa_system_sgpr_workgroup_id_z 0
		.amdhsa_system_sgpr_workgroup_info 0
		.amdhsa_system_vgpr_workitem_id 0
		.amdhsa_next_free_vgpr 82
		.amdhsa_next_free_sgpr 22
		.amdhsa_reserve_vcc 1
		.amdhsa_reserve_flat_scratch 0
		.amdhsa_float_round_mode_32 0
		.amdhsa_float_round_mode_16_64 0
		.amdhsa_float_denorm_mode_32 3
		.amdhsa_float_denorm_mode_16_64 3
		.amdhsa_dx10_clamp 1
		.amdhsa_ieee_mode 1
		.amdhsa_fp16_overflow 0
		.amdhsa_exception_fp_ieee_invalid_op 0
		.amdhsa_exception_fp_denorm_src 0
		.amdhsa_exception_fp_ieee_div_zero 0
		.amdhsa_exception_fp_ieee_overflow 0
		.amdhsa_exception_fp_ieee_underflow 0
		.amdhsa_exception_fp_ieee_inexact 0
		.amdhsa_exception_int_div_zero 0
	.end_amdhsa_kernel
	.text
.Lfunc_end0:
	.size	fft_rtc_back_len1440_factors_10_16_3_3_wgs_90_tpt_90_halfLds_sp_ip_CI_unitstride_sbrr_C2R_dirReg, .Lfunc_end0-fft_rtc_back_len1440_factors_10_16_3_3_wgs_90_tpt_90_halfLds_sp_ip_CI_unitstride_sbrr_C2R_dirReg
                                        ; -- End function
	.section	.AMDGPU.csdata,"",@progbits
; Kernel info:
; codeLenInByte = 10000
; NumSgprs: 26
; NumVgprs: 82
; ScratchSize: 0
; MemoryBound: 0
; FloatMode: 240
; IeeeMode: 1
; LDSByteSize: 0 bytes/workgroup (compile time only)
; SGPRBlocks: 3
; VGPRBlocks: 20
; NumSGPRsForWavesPerEU: 26
; NumVGPRsForWavesPerEU: 82
; Occupancy: 3
; WaveLimiterHint : 1
; COMPUTE_PGM_RSRC2:SCRATCH_EN: 0
; COMPUTE_PGM_RSRC2:USER_SGPR: 6
; COMPUTE_PGM_RSRC2:TRAP_HANDLER: 0
; COMPUTE_PGM_RSRC2:TGID_X_EN: 1
; COMPUTE_PGM_RSRC2:TGID_Y_EN: 0
; COMPUTE_PGM_RSRC2:TGID_Z_EN: 0
; COMPUTE_PGM_RSRC2:TIDIG_COMP_CNT: 0
	.type	__hip_cuid_33d3bd96de663687,@object ; @__hip_cuid_33d3bd96de663687
	.section	.bss,"aw",@nobits
	.globl	__hip_cuid_33d3bd96de663687
__hip_cuid_33d3bd96de663687:
	.byte	0                               ; 0x0
	.size	__hip_cuid_33d3bd96de663687, 1

	.ident	"AMD clang version 19.0.0git (https://github.com/RadeonOpenCompute/llvm-project roc-6.4.0 25133 c7fe45cf4b819c5991fe208aaa96edf142730f1d)"
	.section	".note.GNU-stack","",@progbits
	.addrsig
	.addrsig_sym __hip_cuid_33d3bd96de663687
	.amdgpu_metadata
---
amdhsa.kernels:
  - .args:
      - .actual_access:  read_only
        .address_space:  global
        .offset:         0
        .size:           8
        .value_kind:     global_buffer
      - .offset:         8
        .size:           8
        .value_kind:     by_value
      - .actual_access:  read_only
        .address_space:  global
        .offset:         16
        .size:           8
        .value_kind:     global_buffer
      - .actual_access:  read_only
        .address_space:  global
        .offset:         24
        .size:           8
        .value_kind:     global_buffer
      - .offset:         32
        .size:           8
        .value_kind:     by_value
      - .actual_access:  read_only
        .address_space:  global
        .offset:         40
        .size:           8
        .value_kind:     global_buffer
      - .actual_access:  read_only
        .address_space:  global
        .offset:         48
        .size:           8
        .value_kind:     global_buffer
      - .offset:         56
        .size:           4
        .value_kind:     by_value
      - .actual_access:  read_only
        .address_space:  global
        .offset:         64
        .size:           8
        .value_kind:     global_buffer
      - .actual_access:  read_only
        .address_space:  global
        .offset:         72
        .size:           8
        .value_kind:     global_buffer
      - .address_space:  global
        .offset:         80
        .size:           8
        .value_kind:     global_buffer
    .group_segment_fixed_size: 0
    .kernarg_segment_align: 8
    .kernarg_segment_size: 88
    .language:       OpenCL C
    .language_version:
      - 2
      - 0
    .max_flat_workgroup_size: 90
    .name:           fft_rtc_back_len1440_factors_10_16_3_3_wgs_90_tpt_90_halfLds_sp_ip_CI_unitstride_sbrr_C2R_dirReg
    .private_segment_fixed_size: 0
    .sgpr_count:     26
    .sgpr_spill_count: 0
    .symbol:         fft_rtc_back_len1440_factors_10_16_3_3_wgs_90_tpt_90_halfLds_sp_ip_CI_unitstride_sbrr_C2R_dirReg.kd
    .uniform_work_group_size: 1
    .uses_dynamic_stack: false
    .vgpr_count:     82
    .vgpr_spill_count: 0
    .wavefront_size: 64
amdhsa.target:   amdgcn-amd-amdhsa--gfx906
amdhsa.version:
  - 1
  - 2
...

	.end_amdgpu_metadata
